;; amdgpu-corpus repo=ROCm/rocFFT kind=compiled arch=gfx906 opt=O3
	.text
	.amdgcn_target "amdgcn-amd-amdhsa--gfx906"
	.amdhsa_code_object_version 6
	.protected	fft_rtc_fwd_len1680_factors_2_2_2_2_3_7_5_wgs_112_tpt_112_halfLds_sp_ip_CI_unitstride_sbrr_dirReg ; -- Begin function fft_rtc_fwd_len1680_factors_2_2_2_2_3_7_5_wgs_112_tpt_112_halfLds_sp_ip_CI_unitstride_sbrr_dirReg
	.globl	fft_rtc_fwd_len1680_factors_2_2_2_2_3_7_5_wgs_112_tpt_112_halfLds_sp_ip_CI_unitstride_sbrr_dirReg
	.p2align	8
	.type	fft_rtc_fwd_len1680_factors_2_2_2_2_3_7_5_wgs_112_tpt_112_halfLds_sp_ip_CI_unitstride_sbrr_dirReg,@function
fft_rtc_fwd_len1680_factors_2_2_2_2_3_7_5_wgs_112_tpt_112_halfLds_sp_ip_CI_unitstride_sbrr_dirReg: ; @fft_rtc_fwd_len1680_factors_2_2_2_2_3_7_5_wgs_112_tpt_112_halfLds_sp_ip_CI_unitstride_sbrr_dirReg
; %bb.0:
	s_load_dwordx2 s[2:3], s[4:5], 0x50
	s_load_dwordx4 s[8:11], s[4:5], 0x0
	s_load_dwordx2 s[12:13], s[4:5], 0x18
	v_mul_u32_u24_e32 v1, 0x24a, v0
	v_add_u32_sdwa v5, s6, v1 dst_sel:DWORD dst_unused:UNUSED_PAD src0_sel:DWORD src1_sel:WORD_1
	v_mov_b32_e32 v3, 0
	s_waitcnt lgkmcnt(0)
	v_cmp_lt_u64_e64 s[0:1], s[10:11], 2
	v_mov_b32_e32 v1, 0
	v_mov_b32_e32 v6, v3
	s_and_b64 vcc, exec, s[0:1]
	v_mov_b32_e32 v2, 0
	s_cbranch_vccnz .LBB0_8
; %bb.1:
	s_load_dwordx2 s[0:1], s[4:5], 0x10
	s_add_u32 s6, s12, 8
	s_addc_u32 s7, s13, 0
	v_mov_b32_e32 v1, 0
	v_mov_b32_e32 v2, 0
	s_waitcnt lgkmcnt(0)
	s_add_u32 s14, s0, 8
	s_addc_u32 s15, s1, 0
	s_mov_b64 s[16:17], 1
.LBB0_2:                                ; =>This Inner Loop Header: Depth=1
	s_load_dwordx2 s[18:19], s[14:15], 0x0
                                        ; implicit-def: $vgpr7_vgpr8
	s_waitcnt lgkmcnt(0)
	v_or_b32_e32 v4, s19, v6
	v_cmp_ne_u64_e32 vcc, 0, v[3:4]
	s_and_saveexec_b64 s[0:1], vcc
	s_xor_b64 s[20:21], exec, s[0:1]
	s_cbranch_execz .LBB0_4
; %bb.3:                                ;   in Loop: Header=BB0_2 Depth=1
	v_cvt_f32_u32_e32 v4, s18
	v_cvt_f32_u32_e32 v7, s19
	s_sub_u32 s0, 0, s18
	s_subb_u32 s1, 0, s19
	v_mac_f32_e32 v4, 0x4f800000, v7
	v_rcp_f32_e32 v4, v4
	v_mul_f32_e32 v4, 0x5f7ffffc, v4
	v_mul_f32_e32 v7, 0x2f800000, v4
	v_trunc_f32_e32 v7, v7
	v_mac_f32_e32 v4, 0xcf800000, v7
	v_cvt_u32_f32_e32 v7, v7
	v_cvt_u32_f32_e32 v4, v4
	v_mul_lo_u32 v8, s0, v7
	v_mul_hi_u32 v9, s0, v4
	v_mul_lo_u32 v11, s1, v4
	v_mul_lo_u32 v10, s0, v4
	v_add_u32_e32 v8, v9, v8
	v_add_u32_e32 v8, v8, v11
	v_mul_hi_u32 v9, v4, v10
	v_mul_lo_u32 v11, v4, v8
	v_mul_hi_u32 v13, v4, v8
	v_mul_hi_u32 v12, v7, v10
	v_mul_lo_u32 v10, v7, v10
	v_mul_hi_u32 v14, v7, v8
	v_add_co_u32_e32 v9, vcc, v9, v11
	v_addc_co_u32_e32 v11, vcc, 0, v13, vcc
	v_mul_lo_u32 v8, v7, v8
	v_add_co_u32_e32 v9, vcc, v9, v10
	v_addc_co_u32_e32 v9, vcc, v11, v12, vcc
	v_addc_co_u32_e32 v10, vcc, 0, v14, vcc
	v_add_co_u32_e32 v8, vcc, v9, v8
	v_addc_co_u32_e32 v9, vcc, 0, v10, vcc
	v_add_co_u32_e32 v4, vcc, v4, v8
	v_addc_co_u32_e32 v7, vcc, v7, v9, vcc
	v_mul_lo_u32 v8, s0, v7
	v_mul_hi_u32 v9, s0, v4
	v_mul_lo_u32 v10, s1, v4
	v_mul_lo_u32 v11, s0, v4
	v_add_u32_e32 v8, v9, v8
	v_add_u32_e32 v8, v8, v10
	v_mul_lo_u32 v12, v4, v8
	v_mul_hi_u32 v13, v4, v11
	v_mul_hi_u32 v14, v4, v8
	;; [unrolled: 1-line block ×3, first 2 shown]
	v_mul_lo_u32 v11, v7, v11
	v_mul_hi_u32 v9, v7, v8
	v_add_co_u32_e32 v12, vcc, v13, v12
	v_addc_co_u32_e32 v13, vcc, 0, v14, vcc
	v_mul_lo_u32 v8, v7, v8
	v_add_co_u32_e32 v11, vcc, v12, v11
	v_addc_co_u32_e32 v10, vcc, v13, v10, vcc
	v_addc_co_u32_e32 v9, vcc, 0, v9, vcc
	v_add_co_u32_e32 v8, vcc, v10, v8
	v_addc_co_u32_e32 v9, vcc, 0, v9, vcc
	v_add_co_u32_e32 v4, vcc, v4, v8
	v_addc_co_u32_e32 v9, vcc, v7, v9, vcc
	v_mad_u64_u32 v[7:8], s[0:1], v5, v9, 0
	v_mul_hi_u32 v10, v5, v4
	v_add_co_u32_e32 v11, vcc, v10, v7
	v_addc_co_u32_e32 v12, vcc, 0, v8, vcc
	v_mad_u64_u32 v[7:8], s[0:1], v6, v4, 0
	v_mad_u64_u32 v[9:10], s[0:1], v6, v9, 0
	v_add_co_u32_e32 v4, vcc, v11, v7
	v_addc_co_u32_e32 v4, vcc, v12, v8, vcc
	v_addc_co_u32_e32 v7, vcc, 0, v10, vcc
	v_add_co_u32_e32 v4, vcc, v4, v9
	v_addc_co_u32_e32 v9, vcc, 0, v7, vcc
	v_mul_lo_u32 v10, s19, v4
	v_mul_lo_u32 v11, s18, v9
	v_mad_u64_u32 v[7:8], s[0:1], s18, v4, 0
	v_add3_u32 v8, v8, v11, v10
	v_sub_u32_e32 v10, v6, v8
	v_mov_b32_e32 v11, s19
	v_sub_co_u32_e32 v7, vcc, v5, v7
	v_subb_co_u32_e64 v10, s[0:1], v10, v11, vcc
	v_subrev_co_u32_e64 v11, s[0:1], s18, v7
	v_subbrev_co_u32_e64 v10, s[0:1], 0, v10, s[0:1]
	v_cmp_le_u32_e64 s[0:1], s19, v10
	v_cndmask_b32_e64 v12, 0, -1, s[0:1]
	v_cmp_le_u32_e64 s[0:1], s18, v11
	v_cndmask_b32_e64 v11, 0, -1, s[0:1]
	v_cmp_eq_u32_e64 s[0:1], s19, v10
	v_cndmask_b32_e64 v10, v12, v11, s[0:1]
	v_add_co_u32_e64 v11, s[0:1], 2, v4
	v_addc_co_u32_e64 v12, s[0:1], 0, v9, s[0:1]
	v_add_co_u32_e64 v13, s[0:1], 1, v4
	v_addc_co_u32_e64 v14, s[0:1], 0, v9, s[0:1]
	v_subb_co_u32_e32 v8, vcc, v6, v8, vcc
	v_cmp_ne_u32_e64 s[0:1], 0, v10
	v_cmp_le_u32_e32 vcc, s19, v8
	v_cndmask_b32_e64 v10, v14, v12, s[0:1]
	v_cndmask_b32_e64 v12, 0, -1, vcc
	v_cmp_le_u32_e32 vcc, s18, v7
	v_cndmask_b32_e64 v7, 0, -1, vcc
	v_cmp_eq_u32_e32 vcc, s19, v8
	v_cndmask_b32_e32 v7, v12, v7, vcc
	v_cmp_ne_u32_e32 vcc, 0, v7
	v_cndmask_b32_e64 v7, v13, v11, s[0:1]
	v_cndmask_b32_e32 v8, v9, v10, vcc
	v_cndmask_b32_e32 v7, v4, v7, vcc
.LBB0_4:                                ;   in Loop: Header=BB0_2 Depth=1
	s_andn2_saveexec_b64 s[0:1], s[20:21]
	s_cbranch_execz .LBB0_6
; %bb.5:                                ;   in Loop: Header=BB0_2 Depth=1
	v_cvt_f32_u32_e32 v4, s18
	s_sub_i32 s20, 0, s18
	v_rcp_iflag_f32_e32 v4, v4
	v_mul_f32_e32 v4, 0x4f7ffffe, v4
	v_cvt_u32_f32_e32 v4, v4
	v_mul_lo_u32 v7, s20, v4
	v_mul_hi_u32 v7, v4, v7
	v_add_u32_e32 v4, v4, v7
	v_mul_hi_u32 v4, v5, v4
	v_mul_lo_u32 v7, v4, s18
	v_add_u32_e32 v8, 1, v4
	v_sub_u32_e32 v7, v5, v7
	v_subrev_u32_e32 v9, s18, v7
	v_cmp_le_u32_e32 vcc, s18, v7
	v_cndmask_b32_e32 v7, v7, v9, vcc
	v_cndmask_b32_e32 v4, v4, v8, vcc
	v_add_u32_e32 v8, 1, v4
	v_cmp_le_u32_e32 vcc, s18, v7
	v_cndmask_b32_e32 v7, v4, v8, vcc
	v_mov_b32_e32 v8, v3
.LBB0_6:                                ;   in Loop: Header=BB0_2 Depth=1
	s_or_b64 exec, exec, s[0:1]
	v_mul_lo_u32 v4, v8, s18
	v_mul_lo_u32 v11, v7, s19
	v_mad_u64_u32 v[9:10], s[0:1], v7, s18, 0
	s_load_dwordx2 s[0:1], s[6:7], 0x0
	s_add_u32 s16, s16, 1
	v_add3_u32 v4, v10, v11, v4
	v_sub_co_u32_e32 v5, vcc, v5, v9
	v_subb_co_u32_e32 v4, vcc, v6, v4, vcc
	s_waitcnt lgkmcnt(0)
	v_mul_lo_u32 v4, s0, v4
	v_mul_lo_u32 v6, s1, v5
	v_mad_u64_u32 v[1:2], s[0:1], s0, v5, v[1:2]
	s_addc_u32 s17, s17, 0
	s_add_u32 s6, s6, 8
	v_add3_u32 v2, v6, v2, v4
	v_mov_b32_e32 v4, s10
	v_mov_b32_e32 v5, s11
	s_addc_u32 s7, s7, 0
	v_cmp_ge_u64_e32 vcc, s[16:17], v[4:5]
	s_add_u32 s14, s14, 8
	s_addc_u32 s15, s15, 0
	s_cbranch_vccnz .LBB0_9
; %bb.7:                                ;   in Loop: Header=BB0_2 Depth=1
	v_mov_b32_e32 v5, v7
	v_mov_b32_e32 v6, v8
	s_branch .LBB0_2
.LBB0_8:
	v_mov_b32_e32 v8, v6
	v_mov_b32_e32 v7, v5
.LBB0_9:
	s_lshl_b64 s[0:1], s[10:11], 3
	s_add_u32 s0, s12, s0
	s_addc_u32 s1, s13, s1
	s_load_dwordx2 s[6:7], s[0:1], 0x0
	s_load_dwordx2 s[10:11], s[4:5], 0x20
                                        ; implicit-def: $vgpr24
                                        ; implicit-def: $vgpr18
                                        ; implicit-def: $vgpr26
                                        ; implicit-def: $vgpr28
                                        ; implicit-def: $vgpr32
                                        ; implicit-def: $vgpr14
                                        ; implicit-def: $vgpr16
                                        ; implicit-def: $vgpr20
                                        ; implicit-def: $vgpr22
                                        ; implicit-def: $vgpr34
                                        ; implicit-def: $vgpr30
                                        ; implicit-def: $vgpr42
                                        ; implicit-def: $vgpr44
                                        ; implicit-def: $vgpr40
                                        ; implicit-def: $vgpr36
                                        ; implicit-def: $vgpr38
	s_waitcnt lgkmcnt(0)
	v_mad_u64_u32 v[1:2], s[0:1], s6, v7, v[1:2]
	v_mul_lo_u32 v3, s6, v8
	v_mul_lo_u32 v4, s7, v7
	s_mov_b32 s0, 0x2492493
	v_mul_hi_u32 v5, v0, s0
	v_cmp_gt_u64_e64 s[0:1], s[10:11], v[7:8]
	v_add3_u32 v2, v4, v2, v3
	v_lshlrev_b64 v[2:3], 3, v[1:2]
	v_mul_u32_u24_e32 v4, 0x70, v5
	v_sub_u32_e32 v0, v0, v4
	s_and_saveexec_b64 s[4:5], s[0:1]
	s_cbranch_execz .LBB0_13
; %bb.10:
	v_mov_b32_e32 v1, 0
	v_mov_b32_e32 v4, s3
	v_add_co_u32_e32 v6, vcc, s2, v2
	v_addc_co_u32_e32 v7, vcc, v4, v3, vcc
	v_lshlrev_b64 v[4:5], 3, v[0:1]
                                        ; implicit-def: $vgpr43
                                        ; implicit-def: $vgpr41
	v_add_co_u32_e32 v4, vcc, v6, v4
	v_addc_co_u32_e32 v5, vcc, v7, v5, vcc
	v_add_co_u32_e32 v6, vcc, 0x1000, v4
	v_addc_co_u32_e32 v7, vcc, 0, v5, vcc
	;; [unrolled: 2-line block ×3, first 2 shown]
	global_load_dwordx2 v[37:38], v[6:7], off offset:3520
	global_load_dwordx2 v[35:36], v[8:9], off offset:320
	;; [unrolled: 1-line block ×10, first 2 shown]
	global_load_dwordx2 v[23:24], v[4:5], off
	global_load_dwordx2 v[25:26], v[4:5], off offset:896
	global_load_dwordx2 v[27:28], v[4:5], off offset:1792
	;; [unrolled: 1-line block ×3, first 2 shown]
	v_cmp_gt_u32_e32 vcc, 56, v0
	s_and_saveexec_b64 s[6:7], vcc
	s_cbranch_execz .LBB0_12
; %bb.11:
	v_add_co_u32_e32 v6, vcc, 0x1000, v4
	v_addc_co_u32_e32 v7, vcc, 0, v5, vcc
	v_add_co_u32_e32 v4, vcc, 0x3000, v4
	v_addc_co_u32_e32 v5, vcc, 0, v5, vcc
	global_load_dwordx2 v[41:42], v[6:7], off offset:2176
	global_load_dwordx2 v[43:44], v[4:5], off offset:704
.LBB0_12:
	s_or_b64 exec, exec, s[6:7]
.LBB0_13:
	s_or_b64 exec, exec, s[4:5]
	s_waitcnt vmcnt(3)
	v_sub_f32_e32 v5, v23, v17
	v_fma_f32 v4, v23, 2.0, -v5
	v_lshl_add_u32 v23, v0, 3, 0
	ds_write_b64 v23, v[4:5]
	s_waitcnt vmcnt(2)
	v_sub_f32_e32 v5, v25, v37
	v_add_u32_e32 v51, 0x70, v0
	v_fma_f32 v4, v25, 2.0, -v5
	v_lshl_add_u32 v25, v51, 3, 0
	ds_write_b64 v25, v[4:5]
	s_waitcnt vmcnt(1)
	v_sub_f32_e32 v5, v27, v35
	v_add_u32_e32 v52, 0xe0, v0
	;; [unrolled: 6-line block ×3, first 2 shown]
	v_fma_f32 v4, v31, 2.0, -v5
	v_lshl_add_u32 v31, v53, 3, 0
	ds_write_b64 v31, v[4:5]
	v_sub_f32_e32 v5, v15, v19
	v_add_u32_e32 v54, 0x1c0, v0
	v_fma_f32 v4, v15, 2.0, -v5
	v_lshl_add_u32 v35, v54, 3, 0
	ds_write_b64 v35, v[4:5]
	v_sub_f32_e32 v5, v21, v33
	v_add_u32_e32 v19, 0x230, v0
	;; [unrolled: 5-line block ×4, first 2 shown]
	v_fma_f32 v4, v41, 2.0, -v5
	v_cmp_gt_u32_e32 vcc, 56, v0
	v_lshl_add_u32 v37, v17, 3, 0
	s_and_saveexec_b64 s[4:5], vcc
	s_cbranch_execz .LBB0_15
; %bb.14:
	ds_write_b64 v37, v[4:5]
.LBB0_15:
	s_or_b64 exec, exec, s[4:5]
	v_lshl_add_u32 v1, v0, 2, 0
	v_add_u32_e32 v6, 0xa00, v1
	s_waitcnt lgkmcnt(0)
	s_barrier
	ds_read2_b32 v[12:13], v6 offset0:32 offset1:200
	v_add_u32_e32 v6, 0xe00, v1
	ds_read2_b32 v[10:11], v6 offset0:56 offset1:168
	v_add_u32_e32 v6, 0x200, v1
	;; [unrolled: 2-line block ×5, first 2 shown]
	ds_read2_b32 v[45:46], v1 offset1:112
	ds_read2_b32 v[6:7], v6 offset0:120 offset1:232
	s_and_saveexec_b64 s[4:5], vcc
	s_cbranch_execz .LBB0_17
; %bb.16:
	ds_read_b32 v4, v1 offset:3136
	ds_read_b32 v5, v1 offset:6496
.LBB0_17:
	s_or_b64 exec, exec, s[4:5]
	v_sub_f32_e32 v56, v24, v18
	v_sub_f32_e32 v15, v42, v44
	v_fma_f32 v55, v24, 2.0, -v56
	v_sub_f32_e32 v39, v26, v38
	v_sub_f32_e32 v58, v28, v36
	;; [unrolled: 1-line block ×6, first 2 shown]
	v_fma_f32 v14, v42, 2.0, -v15
	v_fma_f32 v38, v26, 2.0, -v39
	;; [unrolled: 1-line block ×7, first 2 shown]
	s_waitcnt lgkmcnt(0)
	s_barrier
	ds_write_b64 v23, v[55:56]
	ds_write_b64 v25, v[38:39]
	;; [unrolled: 1-line block ×7, first 2 shown]
	s_and_saveexec_b64 s[4:5], vcc
	s_cbranch_execz .LBB0_19
; %bb.18:
	ds_write_b64 v37, v[14:15]
.LBB0_19:
	s_or_b64 exec, exec, s[4:5]
	v_add_u32_e32 v16, 0xa00, v1
	s_waitcnt lgkmcnt(0)
	s_barrier
	ds_read2_b32 v[22:23], v16 offset0:32 offset1:200
	v_add_u32_e32 v16, 0xe00, v1
	ds_read2_b32 v[36:37], v16 offset0:56 offset1:168
	v_add_u32_e32 v16, 0x200, v1
	;; [unrolled: 2-line block ×5, first 2 shown]
	ds_read2_b32 v[26:27], v1 offset1:112
	ds_read2_b32 v[32:33], v16 offset0:120 offset1:232
	v_lshlrev_b32_e32 v55, 1, v0
	v_lshlrev_b32_e32 v56, 1, v51
	;; [unrolled: 1-line block ×7, first 2 shown]
	s_and_saveexec_b64 s[4:5], vcc
	s_cbranch_execz .LBB0_21
; %bb.20:
	ds_read_b32 v14, v1 offset:3136
	ds_read_b32 v15, v1 offset:6496
.LBB0_21:
	s_or_b64 exec, exec, s[4:5]
	v_and_b32_e32 v62, 1, v0
	v_lshlrev_b32_e32 v16, 3, v62
	global_load_dwordx2 v[38:39], v16, s[8:9]
	s_movk_i32 s4, 0xfc
	s_waitcnt vmcnt(0) lgkmcnt(0)
	s_barrier
	s_movk_i32 s5, 0x5fc
	v_mul_f32_e32 v25, v33, v39
	v_mul_f32_e32 v16, v23, v39
	v_fma_f32 v25, v7, v38, -v25
	v_fma_f32 v16, v13, v38, -v16
	v_sub_f32_e32 v25, v12, v25
	v_mul_f32_e32 v18, v36, v39
	v_sub_f32_e32 v16, v45, v16
	v_fma_f32 v63, v12, 2.0, -v25
	v_and_or_b32 v12, v55, s4, v62
	v_fma_f32 v18, v10, v38, -v18
	v_mul_f32_e32 v19, v37, v39
	v_fma_f32 v41, v45, 2.0, -v16
	v_lshl_add_u32 v12, v12, 2, 0
	s_movk_i32 s4, 0x1fc
	v_fma_f32 v19, v11, v38, -v19
	v_mul_f32_e32 v20, v34, v39
	v_mul_f32_e32 v24, v32, v39
	v_sub_f32_e32 v18, v46, v18
	ds_write2_b32 v12, v41, v16 offset1:2
	v_and_or_b32 v16, v56, s4, v62
	s_movk_i32 s4, 0x3fc
	v_fma_f32 v20, v8, v38, -v20
	v_fma_f32 v24, v6, v38, -v24
	v_fma_f32 v42, v46, 2.0, -v18
	v_sub_f32_e32 v19, v47, v19
	v_lshl_add_u32 v46, v16, 2, 0
	v_and_or_b32 v16, v57, s4, v62
	v_mul_f32_e32 v21, v35, v39
	v_fma_f32 v43, v47, 2.0, -v19
	v_sub_f32_e32 v20, v48, v20
	v_sub_f32_e32 v24, v50, v24
	v_lshl_add_u32 v47, v16, 2, 0
	v_and_or_b32 v16, v59, s4, v62
	s_movk_i32 s4, 0x7fc
	v_fma_f32 v21, v9, v38, -v21
	v_mul_f32_e32 v40, v15, v39
	v_fma_f32 v44, v48, 2.0, -v20
	v_fma_f32 v48, v50, 2.0, -v24
	v_lshl_add_u32 v50, v16, 2, 0
	v_and_or_b32 v16, v60, s4, v62
	v_fma_f32 v40, v5, v38, -v40
	v_sub_f32_e32 v21, v49, v21
	v_lshl_add_u32 v65, v16, 2, 0
	v_and_or_b32 v16, v61, s5, v62
	v_fma_f32 v45, v49, 2.0, -v21
	v_sub_f32_e32 v49, v4, v40
	v_lshl_add_u32 v66, v16, 2, 0
	v_and_or_b32 v16, v58, s4, v62
	v_fma_f32 v4, v4, 2.0, -v49
	ds_write2_b32 v46, v42, v18 offset1:2
	ds_write2_b32 v47, v43, v19 offset1:2
	;; [unrolled: 1-line block ×5, first 2 shown]
	v_lshl_add_u32 v67, v16, 2, 0
	v_lshlrev_b32_e32 v48, 1, v17
	ds_write2_b32 v67, v63, v25 offset1:2
	s_and_saveexec_b64 s[4:5], vcc
	s_cbranch_execz .LBB0_23
; %bb.22:
	s_movk_i32 s6, 0x6fc
	v_and_or_b32 v16, v48, s6, v62
	v_lshl_add_u32 v16, v16, 2, 0
	ds_write2_b32 v16, v4, v49 offset1:2
.LBB0_23:
	s_or_b64 exec, exec, s[4:5]
	v_add_u32_e32 v16, 0xa00, v1
	s_waitcnt lgkmcnt(0)
	s_barrier
	ds_read2_b32 v[24:25], v16 offset0:32 offset1:200
	v_add_u32_e32 v16, 0xe00, v1
	ds_read2_b32 v[20:21], v16 offset0:56 offset1:168
	v_add_u32_e32 v16, 0x200, v1
	;; [unrolled: 2-line block ×5, first 2 shown]
	ds_read2_b32 v[40:41], v1 offset1:112
	ds_read2_b32 v[16:17], v16 offset0:120 offset1:232
	s_and_saveexec_b64 s[4:5], vcc
	s_cbranch_execz .LBB0_25
; %bb.24:
	ds_read_b32 v4, v1 offset:3136
	ds_read_b32 v49, v1 offset:6496
.LBB0_25:
	s_or_b64 exec, exec, s[4:5]
	v_mul_f32_e32 v13, v13, v39
	v_mul_f32_e32 v5, v5, v39
	v_fmac_f32_e32 v13, v23, v38
	v_mul_f32_e32 v10, v10, v39
	v_mul_f32_e32 v11, v11, v39
	;; [unrolled: 1-line block ×6, first 2 shown]
	v_fmac_f32_e32 v5, v15, v38
	v_fmac_f32_e32 v10, v36, v38
	;; [unrolled: 1-line block ×7, first 2 shown]
	v_sub_f32_e32 v13, v26, v13
	v_sub_f32_e32 v64, v14, v5
	v_fma_f32 v15, v26, 2.0, -v13
	v_sub_f32_e32 v10, v27, v10
	v_sub_f32_e32 v11, v28, v11
	;; [unrolled: 1-line block ×6, first 2 shown]
	v_fma_f32 v63, v14, 2.0, -v64
	v_fma_f32 v23, v27, 2.0, -v10
	;; [unrolled: 1-line block ×7, first 2 shown]
	s_waitcnt lgkmcnt(0)
	s_barrier
	ds_write2_b32 v12, v15, v13 offset1:2
	ds_write2_b32 v46, v23, v10 offset1:2
	;; [unrolled: 1-line block ×7, first 2 shown]
	s_and_saveexec_b64 s[4:5], vcc
	s_cbranch_execz .LBB0_27
; %bb.26:
	s_movk_i32 s6, 0x6fc
	v_and_or_b32 v5, v48, s6, v62
	v_lshl_add_u32 v5, v5, 2, 0
	ds_write2_b32 v5, v63, v64 offset1:2
.LBB0_27:
	s_or_b64 exec, exec, s[4:5]
	v_add_u32_e32 v5, 0xa00, v1
	s_waitcnt lgkmcnt(0)
	s_barrier
	ds_read2_b32 v[12:13], v5 offset0:32 offset1:200
	v_add_u32_e32 v5, 0xe00, v1
	ds_read2_b32 v[38:39], v5 offset0:56 offset1:168
	v_add_u32_e32 v5, 0x200, v1
	;; [unrolled: 2-line block ×5, first 2 shown]
	ds_read2_b32 v[28:29], v1 offset1:112
	ds_read2_b32 v[34:35], v5 offset0:120 offset1:232
	s_and_saveexec_b64 s[4:5], vcc
	s_cbranch_execz .LBB0_29
; %bb.28:
	ds_read_b32 v63, v1 offset:3136
	ds_read_b32 v64, v1 offset:6496
.LBB0_29:
	s_or_b64 exec, exec, s[4:5]
	v_and_b32_e32 v62, 3, v0
	v_lshlrev_b32_e32 v5, 3, v62
	global_load_dwordx2 v[46:47], v5, s[8:9] offset:16
	s_movk_i32 s4, 0xf8
	s_movk_i32 s5, 0x1f8
	;; [unrolled: 1-line block ×5, first 2 shown]
	v_and_or_b32 v5, v55, s4, v62
	v_and_or_b32 v6, v56, s5, v62
	v_and_or_b32 v7, v57, s6, v62
	v_and_or_b32 v8, v59, s6, v62
	v_and_or_b32 v9, v60, s7, v62
	v_and_or_b32 v10, v61, s10, v62
	v_and_or_b32 v11, v58, s7, v62
	v_lshl_add_u32 v65, v5, 2, 0
	v_lshl_add_u32 v66, v6, 2, 0
	;; [unrolled: 1-line block ×7, first 2 shown]
	s_waitcnt vmcnt(0) lgkmcnt(0)
	s_barrier
	v_mul_f32_e32 v5, v13, v47
	v_mul_f32_e32 v14, v64, v47
	;; [unrolled: 1-line block ×8, first 2 shown]
	v_fma_f32 v5, v25, v46, -v5
	v_fma_f32 v14, v49, v46, -v14
	;; [unrolled: 1-line block ×8, first 2 shown]
	v_sub_f32_e32 v5, v40, v5
	v_sub_f32_e32 v50, v4, v14
	;; [unrolled: 1-line block ×8, first 2 shown]
	v_fma_f32 v14, v40, 2.0, -v5
	v_fma_f32 v40, v4, 2.0, -v50
	;; [unrolled: 1-line block ×8, first 2 shown]
	ds_write2_b32 v65, v14, v5 offset1:4
	ds_write2_b32 v66, v15, v6 offset1:4
	;; [unrolled: 1-line block ×7, first 2 shown]
	s_and_saveexec_b64 s[4:5], vcc
	s_cbranch_execz .LBB0_31
; %bb.30:
	s_movk_i32 s6, 0x6f8
	v_and_or_b32 v4, v48, s6, v62
	v_lshl_add_u32 v4, v4, 2, 0
	ds_write2_b32 v4, v40, v50 offset1:4
.LBB0_31:
	s_or_b64 exec, exec, s[4:5]
	v_add_u32_e32 v4, 0xa00, v1
	s_waitcnt lgkmcnt(0)
	s_barrier
	ds_read2_b32 v[10:11], v4 offset0:32 offset1:200
	v_add_u32_e32 v4, 0xe00, v1
	ds_read2_b32 v[8:9], v4 offset0:56 offset1:168
	v_add_u32_e32 v4, 0x200, v1
	;; [unrolled: 2-line block ×5, first 2 shown]
	ds_read2_b32 v[14:15], v1 offset1:112
	ds_read2_b32 v[4:5], v4 offset0:120 offset1:232
	s_and_saveexec_b64 s[4:5], vcc
	s_cbranch_execz .LBB0_33
; %bb.32:
	ds_read_b32 v40, v1 offset:3136
	ds_read_b32 v50, v1 offset:6496
.LBB0_33:
	s_or_b64 exec, exec, s[4:5]
	v_mul_f32_e32 v24, v25, v47
	v_fmac_f32_e32 v24, v13, v46
	v_mul_f32_e32 v13, v20, v47
	v_mul_f32_e32 v20, v21, v47
	;; [unrolled: 1-line block ×7, first 2 shown]
	v_fmac_f32_e32 v21, v64, v46
	v_fmac_f32_e32 v13, v38, v46
	;; [unrolled: 1-line block ×7, first 2 shown]
	v_sub_f32_e32 v24, v28, v24
	v_sub_f32_e32 v35, v63, v21
	v_fma_f32 v25, v28, 2.0, -v24
	v_sub_f32_e32 v13, v29, v13
	v_sub_f32_e32 v20, v30, v20
	;; [unrolled: 1-line block ×6, first 2 shown]
	v_fma_f32 v34, v63, 2.0, -v35
	v_fma_f32 v28, v29, 2.0, -v13
	;; [unrolled: 1-line block ×7, first 2 shown]
	s_waitcnt lgkmcnt(0)
	s_barrier
	ds_write2_b32 v65, v25, v24 offset1:4
	ds_write2_b32 v66, v28, v13 offset1:4
	;; [unrolled: 1-line block ×7, first 2 shown]
	s_and_saveexec_b64 s[4:5], vcc
	s_cbranch_execz .LBB0_35
; %bb.34:
	s_movk_i32 s6, 0x6f8
	v_and_or_b32 v12, v48, s6, v62
	v_lshl_add_u32 v12, v12, 2, 0
	ds_write2_b32 v12, v34, v35 offset1:4
.LBB0_35:
	s_or_b64 exec, exec, s[4:5]
	v_add_u32_e32 v18, 0xe00, v1
	v_add_u32_e32 v20, 0x1200, v1
	s_waitcnt lgkmcnt(0)
	s_barrier
	v_add_u32_e32 v12, 0xa00, v1
	ds_read2_b32 v[30:31], v18 offset0:56 offset1:168
	v_add_u32_e32 v18, 0x200, v1
	ds_read2_b32 v[28:29], v20 offset0:24 offset1:136
	v_add_u32_e32 v20, 0x600, v1
	v_add_u32_e32 v24, 0x1400, v1
	ds_read2_b32 v[16:17], v1 offset1:112
	ds_read2_b32 v[12:13], v12 offset0:32 offset1:200
	ds_read2_b32 v[18:19], v18 offset0:96 offset1:208
	;; [unrolled: 1-line block ×4, first 2 shown]
	s_and_saveexec_b64 s[4:5], vcc
	s_cbranch_execz .LBB0_37
; %bb.36:
	ds_read_b32 v34, v1 offset:3136
	ds_read_b32 v35, v1 offset:6496
.LBB0_37:
	s_or_b64 exec, exec, s[4:5]
	v_and_b32_e32 v36, 7, v0
	v_lshlrev_b32_e32 v32, 3, v36
	global_load_dwordx2 v[32:33], v32, s[8:9] offset:48
	s_movk_i32 s7, 0x7f0
	v_and_or_b32 v44, v58, s7, v36
	s_movk_i32 s4, 0xf0
	s_movk_i32 s5, 0x1f0
	;; [unrolled: 1-line block ×3, first 2 shown]
	v_lshl_add_u32 v46, v44, 2, 0
	s_movk_i32 s10, 0x5f0
	v_and_or_b32 v37, v55, s4, v36
	v_and_or_b32 v38, v56, s5, v36
	;; [unrolled: 1-line block ×6, first 2 shown]
	v_lshl_add_u32 v37, v37, 2, 0
	v_lshl_add_u32 v38, v38, 2, 0
	;; [unrolled: 1-line block ×6, first 2 shown]
	s_waitcnt vmcnt(0) lgkmcnt(0)
	s_barrier
	v_mul_f32_e32 v44, v13, v33
	v_mul_f32_e32 v45, v30, v33
	v_mul_f32_e32 v47, v31, v33
	v_mul_f32_e32 v49, v28, v33
	v_mul_f32_e32 v55, v29, v33
	v_mul_f32_e32 v56, v24, v33
	v_mul_f32_e32 v57, v25, v33
	v_mul_f32_e32 v58, v35, v33
	v_fma_f32 v44, v11, v32, -v44
	v_fma_f32 v45, v8, v32, -v45
	;; [unrolled: 1-line block ×8, first 2 shown]
	v_sub_f32_e32 v59, v14, v44
	v_sub_f32_e32 v45, v15, v45
	;; [unrolled: 1-line block ×8, first 2 shown]
	v_fma_f32 v14, v14, 2.0, -v59
	v_fma_f32 v15, v15, 2.0, -v45
	v_fma_f32 v22, v22, 2.0, -v47
	v_fma_f32 v23, v23, 2.0, -v49
	v_fma_f32 v26, v26, 2.0, -v55
	v_fma_f32 v27, v27, 2.0, -v56
	v_fma_f32 v10, v10, 2.0, -v57
	ds_write2_b32 v37, v14, v59 offset1:8
	ds_write2_b32 v38, v15, v45 offset1:8
	;; [unrolled: 1-line block ×7, first 2 shown]
	s_and_saveexec_b64 s[4:5], vcc
	s_cbranch_execz .LBB0_39
; %bb.38:
	s_movk_i32 s6, 0x6f0
	v_and_or_b32 v10, v48, s6, v36
	v_lshl_add_u32 v10, v10, 2, 0
	v_fma_f32 v14, v40, 2.0, -v44
	ds_write2_b32 v10, v14, v44 offset1:8
.LBB0_39:
	s_or_b64 exec, exec, s[4:5]
	v_mul_f32_e32 v8, v8, v33
	v_fmac_f32_e32 v8, v30, v32
	v_mul_f32_e32 v6, v6, v33
	v_mul_f32_e32 v7, v7, v33
	;; [unrolled: 1-line block ×6, first 2 shown]
	v_fmac_f32_e32 v6, v28, v32
	v_fmac_f32_e32 v7, v29, v32
	;; [unrolled: 1-line block ×4, first 2 shown]
	v_mul_f32_e32 v11, v50, v33
	v_sub_f32_e32 v30, v17, v8
	v_fmac_f32_e32 v10, v13, v32
	v_fmac_f32_e32 v9, v31, v32
	;; [unrolled: 1-line block ×3, first 2 shown]
	v_fma_f32 v31, v17, 2.0, -v30
	v_sub_f32_e32 v33, v19, v6
	v_sub_f32_e32 v40, v20, v7
	;; [unrolled: 1-line block ×4, first 2 shown]
	v_add_u32_e32 v14, 0x600, v1
	v_add_u32_e32 v17, 0x1000, v1
	;; [unrolled: 1-line block ×6, first 2 shown]
	v_sub_f32_e32 v15, v16, v10
	v_sub_f32_e32 v32, v18, v9
	v_fma_f32 v35, v19, 2.0, -v33
	v_fma_f32 v47, v20, 2.0, -v40
	;; [unrolled: 1-line block ×4, first 2 shown]
	v_sub_f32_e32 v45, v34, v11
	s_waitcnt lgkmcnt(0)
	s_barrier
	ds_read2_b32 v[10:11], v1 offset1:112
	ds_read2_b32 v[6:7], v14 offset0:64 offset1:176
	ds_read2_b32 v[23:24], v17 offset0:96 offset1:208
	;; [unrolled: 1-line block ×6, first 2 shown]
	ds_read_b32 v27, v1 offset:6272
	v_fma_f32 v16, v16, 2.0, -v15
	v_fma_f32 v18, v18, 2.0, -v32
	s_waitcnt lgkmcnt(0)
	s_barrier
	ds_write2_b32 v37, v16, v15 offset1:8
	ds_write2_b32 v38, v31, v30 offset1:8
	;; [unrolled: 1-line block ×7, first 2 shown]
	s_and_saveexec_b64 s[4:5], vcc
	s_cbranch_execz .LBB0_41
; %bb.40:
	s_movk_i32 s6, 0x6f0
	v_and_or_b32 v5, v48, s6, v36
	v_fma_f32 v4, v34, 2.0, -v45
	v_lshl_add_u32 v5, v5, 2, 0
	ds_write2_b32 v5, v4, v45 offset1:8
.LBB0_41:
	s_or_b64 exec, exec, s[4:5]
	v_and_b32_e32 v30, 15, v0
	v_lshlrev_b32_e32 v4, 4, v30
	s_waitcnt lgkmcnt(0)
	s_barrier
	global_load_dwordx4 v[58:61], v4, s[8:9] offset:112
	ds_read2_b32 v[15:16], v1 offset1:112
	ds_read2_b32 v[4:5], v14 offset0:64 offset1:176
	ds_read2_b32 v[41:42], v17 offset0:96 offset1:208
	;; [unrolled: 1-line block ×6, first 2 shown]
	ds_read_b32 v43, v1 offset:6272
	s_waitcnt vmcnt(0) lgkmcnt(0)
	s_barrier
	v_cmp_gt_u32_e32 vcc, 16, v0
	v_mul_f32_e32 v48, v5, v59
	v_mul_f32_e32 v49, v41, v61
	;; [unrolled: 1-line block ×17, first 2 shown]
	v_fma_f32 v56, v7, v58, -v48
	v_fma_f32 v57, v23, v60, -v49
	;; [unrolled: 1-line block ×6, first 2 shown]
	v_mul_f32_e32 v39, v20, v61
	v_fmac_f32_e32 v31, v5, v58
	v_fmac_f32_e32 v36, v41, v60
	;; [unrolled: 1-line block ×4, first 2 shown]
	v_fma_f32 v42, v12, v58, -v66
	v_fma_f32 v47, v20, v60, -v67
	;; [unrolled: 1-line block ×4, first 2 shown]
	v_add_f32_e32 v12, v56, v57
	v_add_f32_e32 v20, v50, v55
	v_add_f32_e32 v23, v48, v49
	v_mul_f32_e32 v38, v19, v61
	v_mul_f32_e32 v40, v27, v61
	v_add_f32_e32 v7, v10, v56
	v_add_f32_e32 v19, v11, v50
	;; [unrolled: 1-line block ×4, first 2 shown]
	v_fma_f32 v10, -0.5, v12, v10
	v_fmac_f32_e32 v11, -0.5, v20
	v_fma_f32 v20, -0.5, v23, v8
	v_add_f32_e32 v8, v5, v41
	v_fmac_f32_e32 v35, v29, v58
	v_fmac_f32_e32 v40, v43, v60
	v_sub_f32_e32 v13, v31, v36
	v_add_f32_e32 v43, v6, v5
	v_add_f32_e32 v12, v19, v55
	;; [unrolled: 1-line block ×4, first 2 shown]
	v_mov_b32_e32 v27, v10
	v_fmac_f32_e32 v6, -0.5, v8
	v_fmac_f32_e32 v10, 0xbf5db3d7, v13
	v_fmac_f32_e32 v27, 0x3f5db3d7, v13
	v_sub_f32_e32 v8, v35, v40
	v_mov_b32_e32 v13, v6
	v_fmac_f32_e32 v13, 0x3f5db3d7, v8
	v_fmac_f32_e32 v6, 0xbf5db3d7, v8
	v_lshrrev_b32_e32 v8, 4, v0
	v_mul_u32_u24_e32 v8, 48, v8
	v_or_b32_e32 v8, v8, v30
	v_add_f32_e32 v7, v7, v57
	v_lshl_add_u32 v8, v8, 2, 0
	ds_write2_b32 v8, v7, v27 offset1:16
	ds_write_b32 v8, v10 offset:128
	v_lshrrev_b32_e32 v7, 4, v51
	v_mul_u32_u24_e32 v7, 48, v7
	v_add_f32_e32 v23, v43, v41
	v_or_b32_e32 v7, v7, v30
	v_lshrrev_b32_e32 v43, 4, v52
	v_fmac_f32_e32 v32, v46, v58
	v_fmac_f32_e32 v34, v28, v58
	v_lshl_add_u32 v58, v7, 2, 0
	v_mul_u32_u24_e32 v7, 48, v43
	v_or_b32_e32 v7, v7, v30
	v_lshl_add_u32 v59, v7, 2, 0
	v_lshrrev_b32_e32 v7, 4, v53
	v_mul_u32_u24_e32 v7, 48, v7
	v_add_f32_e32 v28, v42, v47
	v_or_b32_e32 v7, v7, v30
	v_fmac_f32_e32 v38, v62, v60
	v_fmac_f32_e32 v39, v63, v60
	v_fmac_f32_e32 v9, -0.5, v28
	v_lshl_add_u32 v53, v7, 2, 0
	v_lshrrev_b32_e32 v7, 4, v54
	v_sub_f32_e32 v21, v32, v37
	v_sub_f32_e32 v24, v33, v38
	;; [unrolled: 1-line block ×3, first 2 shown]
	v_mov_b32_e32 v28, v11
	v_mov_b32_e32 v46, v20
	;; [unrolled: 1-line block ×3, first 2 shown]
	v_mul_u32_u24_e32 v7, 48, v7
	v_fmac_f32_e32 v28, 0x3f5db3d7, v21
	v_fmac_f32_e32 v46, 0x3f5db3d7, v24
	;; [unrolled: 1-line block ×3, first 2 shown]
	v_or_b32_e32 v7, v7, v30
	v_fmac_f32_e32 v11, 0xbf5db3d7, v21
	v_fmac_f32_e32 v20, 0xbf5db3d7, v24
	;; [unrolled: 1-line block ×3, first 2 shown]
	ds_write2_b32 v58, v12, v28 offset1:16
	ds_write_b32 v58, v11 offset:128
	ds_write2_b32 v59, v19, v46 offset1:16
	ds_write_b32 v59, v20 offset:128
	;; [unrolled: 2-line block ×3, first 2 shown]
	v_lshl_add_u32 v60, v7, 2, 0
	ds_write2_b32 v60, v23, v13 offset1:16
	ds_write_b32 v60, v6 offset:128
	s_waitcnt lgkmcnt(0)
	s_barrier
	ds_read2_b32 v[9:10], v1 offset1:112
	ds_read2_b32 v[29:30], v26 offset0:112 offset1:224
	ds_read2_b32 v[27:28], v14 offset0:96 offset1:208
	;; [unrolled: 1-line block ×3, first 2 shown]
	v_add_u32_e32 v54, 0xe00, v1
	v_add_u32_e32 v61, 0x1200, v1
	;; [unrolled: 1-line block ×3, first 2 shown]
	ds_read2_b32 v[23:24], v54 offset0:64 offset1:176
	ds_read2_b32 v[21:22], v61 offset0:48 offset1:160
	;; [unrolled: 1-line block ×3, first 2 shown]
                                        ; implicit-def: $vgpr13
                                        ; implicit-def: $vgpr11
                                        ; implicit-def: $vgpr46
	s_and_saveexec_b64 s[4:5], vcc
	s_cbranch_execz .LBB0_43
; %bb.42:
	v_add_u32_e32 v6, 0x380, v1
	v_add_u32_e32 v11, 0xb00, v1
	ds_read2_b32 v[6:7], v6 offset1:240
	ds_read2_b32 v[13:14], v11 offset1:240
	v_add_u32_e32 v11, 0x1280, v1
	ds_read2_b32 v[11:12], v11 offset1:240
	ds_read_b32 v46, v1 offset:6656
	s_waitcnt lgkmcnt(3)
	v_mov_b32_e32 v44, v7
.LBB0_43:
	s_or_b64 exec, exec, s[4:5]
	v_add_f32_e32 v7, v15, v31
	v_add_f32_e32 v31, v31, v36
	v_fma_f32 v15, -0.5, v31, v15
	v_add_f32_e32 v7, v7, v36
	v_sub_f32_e32 v31, v56, v57
	v_mov_b32_e32 v36, v15
	v_fmac_f32_e32 v36, 0xbf5db3d7, v31
	v_fmac_f32_e32 v15, 0x3f5db3d7, v31
	v_add_f32_e32 v31, v16, v32
	v_add_f32_e32 v32, v32, v37
	v_fmac_f32_e32 v16, -0.5, v32
	v_add_f32_e32 v31, v31, v37
	v_sub_f32_e32 v32, v50, v55
	v_mov_b32_e32 v37, v16
	v_fmac_f32_e32 v37, 0xbf5db3d7, v32
	v_fmac_f32_e32 v16, 0x3f5db3d7, v32
	v_add_f32_e32 v32, v17, v33
	v_add_f32_e32 v33, v33, v38
	v_fma_f32 v17, -0.5, v33, v17
	v_add_f32_e32 v32, v32, v38
	v_sub_f32_e32 v33, v48, v49
	v_mov_b32_e32 v38, v17
	v_fmac_f32_e32 v38, 0xbf5db3d7, v33
	v_fmac_f32_e32 v17, 0x3f5db3d7, v33
	v_add_f32_e32 v33, v18, v34
	v_add_f32_e32 v34, v34, v39
	v_fmac_f32_e32 v18, -0.5, v34
	v_add_f32_e32 v33, v33, v39
	v_sub_f32_e32 v34, v42, v47
	v_mov_b32_e32 v39, v18
	v_fmac_f32_e32 v39, 0xbf5db3d7, v34
	v_fmac_f32_e32 v18, 0x3f5db3d7, v34
	v_add_f32_e32 v34, v4, v35
	v_add_f32_e32 v35, v35, v40
	v_fmac_f32_e32 v4, -0.5, v35
	v_sub_f32_e32 v5, v5, v41
	v_mov_b32_e32 v35, v4
	v_fmac_f32_e32 v35, 0xbf5db3d7, v5
	v_fmac_f32_e32 v4, 0x3f5db3d7, v5
	v_add_u32_e32 v5, 0x200, v1
	v_add_f32_e32 v34, v34, v40
	s_waitcnt lgkmcnt(0)
	s_barrier
	ds_write2_b32 v8, v7, v36 offset1:16
	ds_write_b32 v8, v15 offset:128
	ds_write2_b32 v58, v31, v37 offset1:16
	ds_write_b32 v58, v16 offset:128
	;; [unrolled: 2-line block ×5, first 2 shown]
	s_waitcnt lgkmcnt(0)
	s_barrier
	ds_read2_b32 v[41:42], v5 offset0:112 offset1:224
	v_add_u32_e32 v5, 0x600, v1
	ds_read2_b32 v[39:40], v5 offset0:96 offset1:208
	v_add_u32_e32 v5, 0xa00, v1
	ds_read2_b32 v[7:8], v1 offset1:112
	ds_read2_b32 v[37:38], v5 offset0:80 offset1:192
	ds_read2_b32 v[35:36], v54 offset0:64 offset1:176
	;; [unrolled: 1-line block ×4, first 2 shown]
                                        ; implicit-def: $vgpr17
                                        ; implicit-def: $vgpr15
                                        ; implicit-def: $vgpr47
	s_and_saveexec_b64 s[4:5], vcc
	s_cbranch_execz .LBB0_45
; %bb.44:
	v_add_u32_e32 v4, 0x380, v1
	v_add_u32_e32 v15, 0xb00, v1
	ds_read2_b32 v[4:5], v4 offset1:240
	ds_read2_b32 v[17:18], v15 offset1:240
	v_add_u32_e32 v15, 0x1280, v1
	ds_read2_b32 v[15:16], v15 offset1:240
	ds_read_b32 v47, v1 offset:6656
	s_waitcnt lgkmcnt(3)
	v_mov_b32_e32 v45, v5
.LBB0_45:
	s_or_b64 exec, exec, s[4:5]
	s_movk_i32 s4, 0xab
	v_mul_lo_u16_sdwa v5, v0, s4 dst_sel:DWORD dst_unused:UNUSED_PAD src0_sel:BYTE_0 src1_sel:DWORD
	v_lshrrev_b16_e32 v65, 13, v5
	v_mul_lo_u16_e32 v5, 48, v65
	v_sub_u16_e32 v66, v0, v5
	v_mov_b32_e32 v48, 6
	v_mul_u32_u24_sdwa v5, v66, v48 dst_sel:DWORD dst_unused:UNUSED_PAD src0_sel:BYTE_0 src1_sel:DWORD
	v_lshlrev_b32_e32 v5, 3, v5
	global_load_dwordx4 v[53:56], v5, s[8:9] offset:400
	global_load_dwordx4 v[57:60], v5, s[8:9] offset:384
	;; [unrolled: 1-line block ×3, first 2 shown]
	s_mov_b32 s6, 0x3f5ff5aa
	s_mov_b32 s7, 0x3f3bfb3b
	;; [unrolled: 1-line block ×4, first 2 shown]
	s_waitcnt vmcnt(0) lgkmcnt(6)
	v_mul_f32_e32 v5, v41, v62
	v_fma_f32 v5, v29, v61, -v5
	v_mul_f32_e32 v29, v29, v62
	v_fmac_f32_e32 v29, v41, v61
	s_waitcnt lgkmcnt(5)
	v_mul_f32_e32 v41, v39, v64
	v_fma_f32 v41, v27, v63, -v41
	v_mul_f32_e32 v27, v27, v64
	v_fmac_f32_e32 v27, v39, v63
	s_waitcnt lgkmcnt(3)
	v_mul_f32_e32 v39, v37, v58
	v_fma_f32 v39, v25, v57, -v39
	v_mul_f32_e32 v25, v25, v58
	v_fmac_f32_e32 v25, v37, v57
	s_waitcnt lgkmcnt(2)
	v_mul_f32_e32 v37, v35, v60
	v_fma_f32 v37, v23, v59, -v37
	v_mul_f32_e32 v23, v23, v60
	v_fmac_f32_e32 v23, v35, v59
	s_waitcnt lgkmcnt(1)
	v_mul_f32_e32 v35, v33, v54
	v_fma_f32 v35, v21, v53, -v35
	v_mul_f32_e32 v21, v21, v54
	v_fmac_f32_e32 v21, v33, v53
	s_waitcnt lgkmcnt(0)
	v_mul_f32_e32 v33, v31, v56
	v_fma_f32 v33, v19, v55, -v33
	v_mul_f32_e32 v19, v19, v56
	v_fmac_f32_e32 v19, v31, v55
	v_mul_lo_u16_sdwa v31, v51, s4 dst_sel:DWORD dst_unused:UNUSED_PAD src0_sel:BYTE_0 src1_sel:DWORD
	v_lshrrev_b16_e32 v67, 13, v31
	v_mul_lo_u16_e32 v31, 48, v67
	v_sub_u16_e32 v68, v51, v31
	v_mul_u32_u24_sdwa v31, v68, v48 dst_sel:DWORD dst_unused:UNUSED_PAD src0_sel:BYTE_0 src1_sel:DWORD
	v_lshlrev_b32_e32 v31, 3, v31
	global_load_dwordx4 v[53:56], v31, s[8:9] offset:400
	global_load_dwordx4 v[57:60], v31, s[8:9] offset:384
	;; [unrolled: 1-line block ×3, first 2 shown]
	s_mov_b32 s4, 0xaaab
	s_waitcnt vmcnt(0)
	v_mul_f32_e32 v31, v42, v62
	v_fma_f32 v31, v30, v61, -v31
	v_mul_f32_e32 v30, v30, v62
	v_fmac_f32_e32 v30, v42, v61
	v_mul_f32_e32 v42, v40, v64
	v_fma_f32 v42, v28, v63, -v42
	v_mul_f32_e32 v28, v28, v64
	v_fmac_f32_e32 v28, v40, v63
	;; [unrolled: 4-line block ×6, first 2 shown]
	v_mul_u32_u24_sdwa v32, v52, s4 dst_sel:DWORD dst_unused:UNUSED_PAD src0_sel:WORD_0 src1_sel:DWORD
	v_lshrrev_b32_e32 v32, 21, v32
	v_mul_lo_u16_e32 v32, 48, v32
	v_sub_u16_e32 v69, v52, v32
	v_mul_u32_u24_e32 v32, 6, v69
	v_lshlrev_b32_e32 v32, 3, v32
	global_load_dwordx4 v[57:60], v32, s[8:9] offset:400
	global_load_dwordx4 v[53:56], v32, s[8:9] offset:384
	;; [unrolled: 1-line block ×3, first 2 shown]
	s_waitcnt vmcnt(0)
	s_barrier
	v_mul_f32_e32 v50, v14, v54
	v_mul_f32_e32 v32, v45, v62
	v_fma_f32 v32, v44, v61, -v32
	v_mul_f32_e32 v44, v44, v62
	v_fmac_f32_e32 v44, v45, v61
	v_mul_f32_e32 v45, v17, v64
	v_fma_f32 v45, v13, v63, -v45
	v_mul_f32_e32 v48, v13, v64
	v_mul_f32_e32 v13, v18, v54
	v_fma_f32 v49, v14, v53, -v13
	v_mul_f32_e32 v13, v15, v56
	v_fmac_f32_e32 v50, v18, v53
	v_fma_f32 v53, v11, v55, -v13
	v_mul_f32_e32 v54, v11, v56
	v_mul_f32_e32 v11, v16, v58
	v_fmac_f32_e32 v54, v15, v55
	v_fma_f32 v55, v12, v57, -v11
	v_mul_f32_e32 v56, v12, v58
	v_mul_f32_e32 v11, v47, v60
	v_fmac_f32_e32 v56, v16, v57
	v_fma_f32 v57, v46, v59, -v11
	v_add_f32_e32 v11, v5, v33
	v_add_f32_e32 v13, v41, v35
	v_fmac_f32_e32 v48, v17, v63
	v_add_f32_e32 v15, v39, v37
	v_add_f32_e32 v17, v13, v11
	v_mul_f32_e32 v46, v46, v60
	v_sub_f32_e32 v14, v27, v21
	v_sub_f32_e32 v16, v23, v25
	;; [unrolled: 1-line block ×5, first 2 shown]
	v_add_f32_e32 v15, v15, v17
	v_fmac_f32_e32 v46, v47, v59
	v_sub_f32_e32 v12, v29, v19
	v_add_f32_e32 v47, v16, v14
	v_sub_f32_e32 v58, v16, v14
	v_add_f32_e32 v9, v9, v15
	v_sub_f32_e32 v16, v12, v16
	v_sub_f32_e32 v14, v14, v12
	v_add_f32_e32 v12, v47, v12
	v_mul_f32_e32 v11, 0x3f4a47b2, v11
	v_mul_f32_e32 v17, 0x3d64c772, v13
	;; [unrolled: 1-line block ×3, first 2 shown]
	v_mov_b32_e32 v59, v9
	v_mul_f32_e32 v58, 0x3f5ff5aa, v14
	v_fmac_f32_e32 v59, 0xbf955555, v15
	v_fma_f32 v15, v18, s7, -v17
	v_fma_f32 v17, v18, s10, -v11
	v_fmac_f32_e32 v11, 0x3d64c772, v13
	v_fma_f32 v13, v14, s6, -v47
	v_fmac_f32_e32 v47, 0x3eae86e6, v16
	v_fma_f32 v14, v16, s11, -v58
	v_add_f32_e32 v11, v11, v59
	v_add_f32_e32 v15, v15, v59
	v_fmac_f32_e32 v47, 0x3ee1c552, v12
	v_fmac_f32_e32 v13, 0x3ee1c552, v12
	;; [unrolled: 1-line block ×3, first 2 shown]
	v_add_f32_e32 v12, v47, v11
	v_sub_f32_e32 v18, v15, v13
	v_add_f32_e32 v13, v13, v15
	v_sub_f32_e32 v11, v11, v47
	v_add_f32_e32 v15, v31, v34
	v_add_f32_e32 v47, v42, v36
	;; [unrolled: 1-line block ×5, first 2 shown]
	v_sub_f32_e32 v58, v28, v22
	v_sub_f32_e32 v60, v24, v26
	;; [unrolled: 1-line block ×5, first 2 shown]
	v_add_f32_e32 v59, v59, v61
	v_add_f32_e32 v17, v14, v16
	v_sub_f32_e32 v14, v16, v14
	v_sub_f32_e32 v16, v30, v20
	v_add_f32_e32 v63, v60, v58
	v_sub_f32_e32 v64, v60, v58
	v_add_f32_e32 v10, v10, v59
	v_sub_f32_e32 v60, v16, v60
	v_sub_f32_e32 v58, v58, v16
	v_add_f32_e32 v16, v63, v16
	v_mul_f32_e32 v15, 0x3f4a47b2, v15
	v_mul_f32_e32 v61, 0x3d64c772, v47
	;; [unrolled: 1-line block ×3, first 2 shown]
	v_mov_b32_e32 v70, v10
	v_mul_f32_e32 v64, 0x3f5ff5aa, v58
	v_fmac_f32_e32 v70, 0xbf955555, v59
	v_fma_f32 v59, v62, s7, -v61
	v_fma_f32 v61, v62, s10, -v15
	v_fmac_f32_e32 v15, 0x3d64c772, v47
	v_fma_f32 v47, v58, s6, -v63
	v_fmac_f32_e32 v63, 0x3eae86e6, v60
	v_fma_f32 v58, v60, s11, -v64
	v_add_f32_e32 v59, v59, v70
	v_fmac_f32_e32 v47, 0x3ee1c552, v16
	v_add_f32_e32 v15, v15, v70
	v_add_f32_e32 v60, v61, v70
	v_fmac_f32_e32 v63, 0x3ee1c552, v16
	v_fmac_f32_e32 v58, 0x3ee1c552, v16
	v_sub_f32_e32 v62, v59, v47
	v_add_f32_e32 v47, v47, v59
	v_mov_b32_e32 v59, 2
	v_add_f32_e32 v16, v63, v15
	v_add_f32_e32 v61, v58, v60
	v_sub_f32_e32 v60, v60, v58
	v_sub_f32_e32 v15, v15, v63
	v_mul_u32_u24_e32 v58, 0x540, v65
	v_lshlrev_b32_sdwa v63, v59, v66 dst_sel:DWORD dst_unused:UNUSED_PAD src0_sel:DWORD src1_sel:BYTE_0
	v_add3_u32 v58, 0, v58, v63
	ds_write2_b32 v58, v9, v12 offset1:48
	ds_write2_b32 v58, v17, v18 offset0:96 offset1:144
	ds_write2_b32 v58, v13, v14 offset0:192 offset1:240
	ds_write_b32 v58, v11 offset:1152
	v_mul_u32_u24_e32 v9, 0x540, v67
	v_lshlrev_b32_sdwa v11, v59, v68 dst_sel:DWORD dst_unused:UNUSED_PAD src0_sel:DWORD src1_sel:BYTE_0
	v_add3_u32 v59, 0, v9, v11
	ds_write2_b32 v59, v10, v16 offset1:48
	ds_write2_b32 v59, v61, v62 offset0:96 offset1:144
	ds_write2_b32 v59, v47, v60 offset0:192 offset1:240
	ds_write_b32 v59, v15 offset:1152
	v_lshl_add_u32 v47, v69, 2, 0
	s_and_saveexec_b64 s[4:5], vcc
	s_cbranch_execz .LBB0_47
; %bb.46:
	v_add_f32_e32 v9, v32, v57
	v_add_f32_e32 v10, v49, v53
	v_sub_f32_e32 v11, v9, v10
	v_mul_f32_e32 v11, 0x3f4a47b2, v11
	v_add_f32_e32 v12, v45, v55
	v_sub_f32_e32 v13, v10, v12
	v_mov_b32_e32 v15, v11
	v_mul_f32_e32 v14, 0x3d64c772, v13
	v_fmac_f32_e32 v15, 0x3d64c772, v13
	v_add_f32_e32 v13, v12, v9
	v_add_f32_e32 v10, v10, v13
	v_add_f32_e32 v6, v6, v10
	v_mov_b32_e32 v13, v6
	v_sub_f32_e32 v16, v54, v50
	v_sub_f32_e32 v18, v48, v56
	v_fmac_f32_e32 v13, 0xbf955555, v10
	v_sub_f32_e32 v60, v16, v18
	v_add_f32_e32 v10, v15, v13
	v_sub_f32_e32 v15, v44, v46
	v_mul_f32_e32 v60, 0xbf08b237, v60
	v_sub_f32_e32 v17, v15, v16
	v_mov_b32_e32 v61, v60
	v_add_f32_e32 v16, v16, v18
	v_sub_f32_e32 v9, v12, v9
	v_sub_f32_e32 v12, v18, v15
	v_fmac_f32_e32 v61, 0x3eae86e6, v17
	v_add_f32_e32 v16, v16, v15
	v_fma_f32 v11, v9, s10, -v11
	v_mul_f32_e32 v15, 0x3f5ff5aa, v12
	v_fma_f32 v12, v12, s6, -v60
	v_fma_f32 v9, v9, s7, -v14
	v_fmac_f32_e32 v61, 0x3ee1c552, v16
	v_fma_f32 v15, v17, s11, -v15
	v_fmac_f32_e32 v12, 0x3ee1c552, v16
	v_add_f32_e32 v9, v9, v13
	v_sub_f32_e32 v62, v10, v61
	v_add_f32_e32 v11, v11, v13
	v_fmac_f32_e32 v15, 0x3ee1c552, v16
	v_add_f32_e32 v13, v12, v9
	v_sub_f32_e32 v9, v9, v12
	v_add_f32_e32 v10, v61, v10
	v_add_u32_e32 v12, 0x1400, v47
	v_sub_f32_e32 v17, v11, v15
	v_add_f32_e32 v11, v15, v11
	ds_write2_b32 v12, v6, v10 offset0:64 offset1:112
	ds_write2_b32 v12, v11, v9 offset0:160 offset1:208
	v_add_u32_e32 v6, 0x1800, v47
	ds_write2_b32 v6, v13, v17 offset1:48
	ds_write_b32 v47, v62 offset:6528
.LBB0_47:
	s_or_b64 exec, exec, s[4:5]
	v_add_f32_e32 v6, v29, v19
	v_add_f32_e32 v9, v27, v21
	;; [unrolled: 1-line block ×4, first 2 shown]
	v_sub_f32_e32 v10, v41, v35
	v_sub_f32_e32 v12, v37, v39
	;; [unrolled: 1-line block ×5, first 2 shown]
	v_add_f32_e32 v11, v11, v13
	v_sub_f32_e32 v5, v5, v33
	v_add_f32_e32 v15, v12, v10
	v_sub_f32_e32 v16, v12, v10
	;; [unrolled: 2-line block ×3, first 2 shown]
	v_sub_f32_e32 v10, v10, v5
	v_add_f32_e32 v5, v15, v5
	v_mul_f32_e32 v6, 0x3f4a47b2, v6
	v_mul_f32_e32 v13, 0x3d64c772, v9
	;; [unrolled: 1-line block ×3, first 2 shown]
	v_mov_b32_e32 v17, v7
	v_mul_f32_e32 v16, 0x3f5ff5aa, v10
	v_fmac_f32_e32 v17, 0xbf955555, v11
	v_fma_f32 v11, v14, s7, -v13
	v_fma_f32 v13, v14, s10, -v6
	v_fmac_f32_e32 v6, 0x3d64c772, v9
	v_fma_f32 v9, v10, s6, -v15
	v_fmac_f32_e32 v15, 0x3eae86e6, v12
	v_fma_f32 v10, v12, s11, -v16
	v_add_f32_e32 v11, v11, v17
	v_fmac_f32_e32 v9, 0x3ee1c552, v5
	v_fmac_f32_e32 v15, 0x3ee1c552, v5
	;; [unrolled: 1-line block ×3, first 2 shown]
	v_add_f32_e32 v27, v9, v11
	v_sub_f32_e32 v29, v11, v9
	v_add_f32_e32 v5, v30, v20
	v_add_f32_e32 v9, v28, v22
	;; [unrolled: 1-line block ×6, first 2 shown]
	v_sub_f32_e32 v25, v12, v10
	v_add_f32_e32 v33, v10, v12
	v_sub_f32_e32 v10, v42, v36
	v_sub_f32_e32 v12, v38, v40
	v_sub_f32_e32 v14, v9, v5
	v_sub_f32_e32 v5, v5, v11
	v_sub_f32_e32 v9, v11, v9
	v_add_f32_e32 v11, v11, v13
	v_sub_f32_e32 v23, v6, v15
	v_add_f32_e32 v35, v15, v6
	v_sub_f32_e32 v6, v31, v34
	;; [unrolled: 2-line block ×4, first 2 shown]
	v_sub_f32_e32 v10, v10, v6
	v_add_f32_e32 v6, v15, v6
	v_mul_f32_e32 v5, 0x3f4a47b2, v5
	v_mul_f32_e32 v13, 0x3d64c772, v9
	;; [unrolled: 1-line block ×3, first 2 shown]
	v_mov_b32_e32 v17, v8
	v_fmac_f32_e32 v17, 0xbf955555, v11
	v_fma_f32 v11, v14, s7, -v13
	v_fma_f32 v13, v14, s10, -v5
	v_fmac_f32_e32 v5, 0x3d64c772, v9
	v_fma_f32 v9, v10, s6, -v15
	v_add_f32_e32 v11, v11, v17
	v_fmac_f32_e32 v9, 0x3ee1c552, v6
	v_mul_f32_e32 v16, 0x3f5ff5aa, v10
	v_fmac_f32_e32 v15, 0x3eae86e6, v12
	v_add_f32_e32 v26, v9, v11
	v_sub_f32_e32 v28, v11, v9
	v_add_u32_e32 v11, 0xa00, v1
	v_fma_f32 v10, v12, s11, -v16
	v_add_f32_e32 v5, v5, v17
	v_add_f32_e32 v12, v13, v17
	v_fmac_f32_e32 v15, 0x3ee1c552, v6
	s_waitcnt lgkmcnt(0)
	s_barrier
	ds_read2_b32 v[13:14], v11 offset0:32 offset1:144
	v_add_u32_e32 v11, 0xc00, v1
	v_fmac_f32_e32 v10, 0x3ee1c552, v6
	v_sub_f32_e32 v22, v5, v15
	v_add_f32_e32 v31, v15, v5
	v_add_u32_e32 v9, 0x200, v1
	ds_read2_b32 v[15:16], v11 offset0:128 offset1:240
	v_add_u32_e32 v11, 0x1400, v1
	v_add_u32_e32 v17, 0x600, v1
	v_add_u32_e32 v19, 0x1000, v1
	v_sub_f32_e32 v24, v12, v10
	v_add_f32_e32 v30, v10, v12
	ds_read2_b32 v[5:6], v1 offset1:112
	ds_read2_b32 v[9:10], v9 offset0:96 offset1:208
	ds_read2_b32 v[11:12], v11 offset0:64 offset1:176
	;; [unrolled: 1-line block ×4, first 2 shown]
	ds_read_b32 v21, v1 offset:6272
	s_waitcnt lgkmcnt(0)
	s_barrier
	ds_write2_b32 v58, v7, v23 offset1:48
	ds_write2_b32 v58, v25, v27 offset0:96 offset1:144
	ds_write2_b32 v58, v29, v33 offset0:192 offset1:240
	ds_write_b32 v58, v35 offset:1152
	ds_write2_b32 v59, v8, v22 offset1:48
	ds_write2_b32 v59, v24, v26 offset0:96 offset1:144
	ds_write2_b32 v59, v28, v30 offset0:192 offset1:240
	ds_write_b32 v59, v31 offset:1152
	s_and_saveexec_b64 s[4:5], vcc
	s_cbranch_execz .LBB0_49
; %bb.48:
	v_add_f32_e32 v7, v44, v46
	v_add_f32_e32 v22, v48, v56
	;; [unrolled: 1-line block ×4, first 2 shown]
	v_sub_f32_e32 v27, v22, v7
	v_sub_f32_e32 v7, v7, v24
	;; [unrolled: 1-line block ×3, first 2 shown]
	v_add_f32_e32 v24, v24, v26
	v_sub_f32_e32 v23, v45, v55
	v_sub_f32_e32 v25, v53, v49
	v_add_f32_e32 v4, v4, v24
	v_sub_f32_e32 v8, v32, v57
	v_add_f32_e32 v28, v25, v23
	v_sub_f32_e32 v29, v25, v23
	v_mul_f32_e32 v26, 0x3d64c772, v22
	v_mov_b32_e32 v30, v4
	v_sub_f32_e32 v25, v8, v25
	v_sub_f32_e32 v23, v23, v8
	v_add_f32_e32 v8, v28, v8
	v_mul_f32_e32 v7, 0x3f4a47b2, v7
	v_mul_f32_e32 v28, 0xbf08b237, v29
	v_fmac_f32_e32 v30, 0xbf955555, v24
	v_fma_f32 v24, v27, s7, -v26
	s_mov_b32 s7, 0xbf3bfb3b
	v_mul_f32_e32 v29, 0x3f5ff5aa, v23
	v_fma_f32 v26, v27, s7, -v7
	v_fmac_f32_e32 v7, 0x3d64c772, v22
	v_fma_f32 v22, v23, s6, -v28
	v_fmac_f32_e32 v28, 0x3eae86e6, v25
	s_mov_b32 s6, 0xbeae86e6
	v_fma_f32 v23, v25, s6, -v29
	v_add_f32_e32 v7, v7, v30
	v_add_f32_e32 v24, v24, v30
	v_fmac_f32_e32 v28, 0x3ee1c552, v8
	v_fmac_f32_e32 v22, 0x3ee1c552, v8
	v_add_f32_e32 v25, v26, v30
	v_fmac_f32_e32 v23, 0x3ee1c552, v8
	v_sub_f32_e32 v8, v7, v28
	v_add_f32_e32 v27, v22, v24
	v_sub_f32_e32 v22, v24, v22
	v_add_u32_e32 v24, 0x1400, v47
	v_sub_f32_e32 v26, v25, v23
	v_add_f32_e32 v23, v23, v25
	ds_write2_b32 v24, v4, v8 offset0:64 offset1:112
	ds_write2_b32 v24, v26, v27 offset0:160 offset1:208
	v_add_u32_e32 v4, 0x1800, v47
	v_add_f32_e32 v7, v28, v7
	ds_write2_b32 v4, v22, v23 offset1:48
	ds_write_b32 v47, v7 offset:6528
.LBB0_49:
	s_or_b64 exec, exec, s[4:5]
	s_waitcnt lgkmcnt(0)
	s_barrier
	s_and_saveexec_b64 s[4:5], s[0:1]
	s_cbranch_execz .LBB0_51
; %bb.50:
	v_lshlrev_b32_e32 v7, 2, v52
	v_mov_b32_e32 v8, 0
	v_lshlrev_b64 v[22:23], 3, v[7:8]
	v_mov_b32_e32 v4, s9
	v_add_co_u32_e32 v30, vcc, s8, v22
	v_addc_co_u32_e32 v31, vcc, v4, v23, vcc
	global_load_dwordx4 v[22:25], v[30:31], off offset:2672
	global_load_dwordx4 v[26:29], v[30:31], off offset:2688
	v_add_u32_e32 v7, 0x600, v1
	v_add_u32_e32 v30, 0xc00, v1
	ds_read_b32 v42, v1 offset:6272
	v_add_u32_e32 v31, 0x1000, v1
	v_add_u32_e32 v32, 0x200, v1
	ds_read2_b32 v[38:39], v7 offset0:64 offset1:176
	ds_read2_b32 v[40:41], v30 offset0:128 offset1:240
	;; [unrolled: 1-line block ×4, first 2 shown]
	v_lshlrev_b32_e32 v7, 2, v51
	v_lshlrev_b64 v[30:31], 3, v[7:8]
	s_movk_i32 s0, 0x1000
	v_add_co_u32_e32 v48, vcc, s8, v30
	v_addc_co_u32_e32 v49, vcc, v4, v31, vcc
	global_load_dwordx4 v[30:33], v[48:49], off offset:2688
	global_load_dwordx4 v[34:37], v[48:49], off offset:2672
	s_movk_i32 s1, 0x2000
	s_waitcnt vmcnt(3) lgkmcnt(3)
	v_mul_f32_e32 v7, v22, v39
	s_waitcnt lgkmcnt(2)
	v_mul_f32_e32 v48, v24, v40
	s_waitcnt vmcnt(2)
	v_mul_f32_e32 v50, v28, v42
	v_mul_f32_e32 v40, v25, v40
	;; [unrolled: 1-line block ×4, first 2 shown]
	v_fmac_f32_e32 v7, v18, v23
	v_fmac_f32_e32 v48, v15, v25
	;; [unrolled: 1-line block ×3, first 2 shown]
	s_waitcnt lgkmcnt(1)
	v_mul_f32_e32 v51, v26, v45
	v_fma_f32 v15, v15, v24, -v40
	v_fma_f32 v18, v18, v22, -v39
	;; [unrolled: 1-line block ×3, first 2 shown]
	v_sub_f32_e32 v22, v7, v48
	v_sub_f32_e32 v42, v7, v50
	;; [unrolled: 1-line block ×3, first 2 shown]
	v_add_f32_e32 v49, v7, v50
	s_waitcnt lgkmcnt(0)
	v_add_f32_e32 v7, v7, v46
	v_mul_f32_e32 v45, v27, v45
	v_fmac_f32_e32 v51, v20, v27
	v_add_f32_e32 v7, v48, v7
	v_fma_f32 v20, v20, v26, -v45
	v_add_f32_e32 v7, v51, v7
	v_sub_f32_e32 v23, v50, v51
	v_add_f32_e32 v26, v48, v51
	v_sub_f32_e32 v27, v18, v15
	v_sub_f32_e32 v28, v21, v20
	v_add_f32_e32 v39, v15, v20
	v_sub_f32_e32 v52, v48, v51
	v_sub_f32_e32 v45, v51, v50
	v_add_f32_e32 v51, v50, v7
	v_add_f32_e32 v7, v9, v18
	v_add_f32_e32 v55, v18, v21
	v_add_f32_e32 v22, v22, v23
	v_add_f32_e32 v23, v27, v28
	v_fma_f32 v28, -0.5, v39, v9
	v_add_f32_e32 v7, v7, v15
	v_fma_f32 v29, -0.5, v26, v46
	v_add_f32_e32 v26, v40, v45
	v_fma_f32 v39, -0.5, v55, v9
	v_mov_b32_e32 v45, v28
	v_add_f32_e32 v7, v7, v20
	v_sub_f32_e32 v53, v15, v18
	v_sub_f32_e32 v54, v20, v21
	v_mov_b32_e32 v48, v39
	v_fmac_f32_e32 v28, 0x3f737871, v42
	v_fmac_f32_e32 v45, 0xbf737871, v42
	v_add_f32_e32 v50, v21, v7
	v_add_u32_e32 v7, 0xa00, v1
	v_add_f32_e32 v27, v53, v54
	v_fmac_f32_e32 v48, 0xbf737871, v52
	v_fmac_f32_e32 v28, 0x3f167918, v52
	;; [unrolled: 1-line block ×4, first 2 shown]
	ds_read2_b32 v[52:53], v7 offset0:32 offset1:144
	v_lshlrev_b32_e32 v7, 2, v0
	v_sub_f32_e32 v24, v15, v20
	v_sub_f32_e32 v25, v18, v21
	v_fma_f32 v40, -0.5, v49, v46
	v_lshlrev_b64 v[20:21], 3, v[7:8]
	v_mov_b32_e32 v46, v29
	v_mov_b32_e32 v49, v40
	v_fmac_f32_e32 v29, 0xbf737871, v25
	v_fmac_f32_e32 v46, 0x3f737871, v25
	;; [unrolled: 1-line block ×4, first 2 shown]
	v_add_co_u32_e32 v54, vcc, s8, v20
	v_fmac_f32_e32 v29, 0xbf167918, v24
	v_fmac_f32_e32 v46, 0x3f167918, v24
	;; [unrolled: 1-line block ×6, first 2 shown]
	v_addc_co_u32_e32 v55, vcc, v4, v21, vcc
	v_fmac_f32_e32 v29, 0x3e9e377a, v22
	v_fmac_f32_e32 v28, 0x3e9e377a, v23
	;; [unrolled: 1-line block ×8, first 2 shown]
	global_load_dwordx4 v[20:23], v[54:55], off offset:2688
	global_load_dwordx4 v[24:27], v[54:55], off offset:2672
	v_add_u32_e32 v7, 0x1400, v1
	ds_read2_b32 v[54:55], v7 offset0:64 offset1:176
	s_waitcnt vmcnt(2)
	v_mul_f32_e32 v4, v34, v38
	s_waitcnt lgkmcnt(1)
	v_mul_f32_e32 v7, v36, v53
	v_mul_f32_e32 v56, v30, v44
	v_fmac_f32_e32 v4, v17, v35
	s_waitcnt lgkmcnt(0)
	v_mul_f32_e32 v42, v32, v55
	v_fmac_f32_e32 v7, v14, v37
	v_fmac_f32_e32 v42, v12, v33
	;; [unrolled: 1-line block ×3, first 2 shown]
	v_sub_f32_e32 v9, v4, v7
	v_sub_f32_e32 v15, v42, v56
	v_add_f32_e32 v9, v9, v15
	v_mul_f32_e32 v15, v37, v53
	v_fma_f32 v36, v14, v36, -v15
	v_mul_f32_e32 v14, v31, v44
	v_fma_f32 v19, v19, v30, -v14
	;; [unrolled: 2-line block ×3, first 2 shown]
	ds_read2_b32 v[14:15], v1 offset1:112
	v_mul_f32_e32 v1, v33, v55
	v_fma_f32 v1, v12, v32, -v1
	v_sub_f32_e32 v32, v7, v4
	v_sub_f32_e32 v33, v56, v42
	;; [unrolled: 1-line block ×3, first 2 shown]
	v_add_f32_e32 v57, v32, v33
	v_add_f32_e32 v32, v4, v42
	s_waitcnt lgkmcnt(0)
	v_add_f32_e32 v4, v4, v15
	v_add_f32_e32 v4, v7, v4
	;; [unrolled: 1-line block ×4, first 2 shown]
	v_fma_f32 v18, -0.5, v17, v15
	v_sub_f32_e32 v55, v7, v56
	v_add_f32_e32 v7, v42, v4
	v_add_f32_e32 v4, v6, v38
	v_sub_f32_e32 v12, v38, v1
	v_mov_b32_e32 v31, v18
	v_sub_f32_e32 v17, v38, v36
	v_sub_f32_e32 v30, v1, v19
	v_fma_f32 v33, -0.5, v32, v15
	v_sub_f32_e32 v32, v36, v38
	v_sub_f32_e32 v34, v19, v1
	v_add_f32_e32 v4, v4, v36
	v_sub_f32_e32 v37, v36, v19
	v_fmac_f32_e32 v31, 0x3f737871, v12
	v_add_f32_e32 v44, v17, v30
	v_add_f32_e32 v17, v36, v19
	v_mov_b32_e32 v35, v33
	v_add_f32_e32 v58, v32, v34
	v_add_f32_e32 v32, v38, v1
	v_fmac_f32_e32 v18, 0xbf737871, v12
	v_add_f32_e32 v4, v4, v19
	v_fmac_f32_e32 v31, 0x3f167918, v37
	v_fma_f32 v17, -0.5, v17, v6
	v_fmac_f32_e32 v35, 0xbf737871, v37
	v_fma_f32 v32, -0.5, v32, v6
	v_fmac_f32_e32 v33, 0x3f737871, v37
	v_fmac_f32_e32 v18, 0xbf167918, v37
	v_add_f32_e32 v6, v1, v4
	v_fmac_f32_e32 v31, 0x3e9e377a, v9
	v_fmac_f32_e32 v35, 0x3f167918, v12
	;; [unrolled: 1-line block ×4, first 2 shown]
	v_mov_b32_e32 v30, v17
	v_fmac_f32_e32 v30, 0xbf737871, v53
	v_fmac_f32_e32 v17, 0x3f737871, v53
	v_add_co_u32_e32 v2, vcc, s2, v2
	v_fmac_f32_e32 v30, 0xbf167918, v55
	v_fmac_f32_e32 v17, 0x3f167918, v55
	;; [unrolled: 1-line block ×4, first 2 shown]
	v_mov_b32_e32 v34, v32
	v_fmac_f32_e32 v32, 0xbf737871, v55
	v_fmac_f32_e32 v34, 0x3f737871, v55
	;; [unrolled: 1-line block ×5, first 2 shown]
	s_waitcnt vmcnt(1)
	v_mul_f32_e32 v36, v22, v54
	s_waitcnt vmcnt(0)
	v_mul_f32_e32 v1, v24, v47
	v_mul_f32_e32 v4, v26, v52
	;; [unrolled: 1-line block ×3, first 2 shown]
	v_fmac_f32_e32 v1, v10, v25
	v_fmac_f32_e32 v4, v13, v27
	;; [unrolled: 1-line block ×4, first 2 shown]
	v_sub_f32_e32 v9, v1, v4
	v_sub_f32_e32 v12, v36, v37
	v_add_f32_e32 v38, v9, v12
	v_mul_f32_e32 v9, v27, v52
	v_fma_f32 v13, v13, v26, -v9
	v_mul_f32_e32 v9, v21, v41
	v_fma_f32 v21, v16, v20, -v9
	v_sub_f32_e32 v15, v4, v1
	v_sub_f32_e32 v16, v37, v36
	v_mul_f32_e32 v9, v25, v47
	v_sub_f32_e32 v27, v1, v36
	v_add_f32_e32 v42, v15, v16
	v_add_f32_e32 v15, v1, v36
	;; [unrolled: 1-line block ×3, first 2 shown]
	v_fma_f32 v24, v10, v24, -v9
	v_mul_f32_e32 v9, v23, v54
	v_add_f32_e32 v1, v4, v1
	v_fma_f32 v22, v11, v22, -v9
	v_add_f32_e32 v9, v4, v37
	v_add_f32_e32 v1, v37, v1
	v_fma_f32 v10, -0.5, v9, v14
	v_fma_f32 v16, -0.5, v15, v14
	v_add_f32_e32 v14, v36, v1
	v_add_f32_e32 v1, v5, v24
	;; [unrolled: 1-line block ×3, first 2 shown]
	v_sub_f32_e32 v9, v24, v13
	v_sub_f32_e32 v11, v22, v21
	v_add_f32_e32 v1, v1, v21
	v_sub_f32_e32 v26, v13, v21
	v_add_f32_e32 v25, v9, v11
	v_add_f32_e32 v9, v13, v21
	v_sub_f32_e32 v15, v13, v24
	v_add_f32_e32 v13, v22, v1
	v_mov_b32_e32 v1, v8
	v_sub_f32_e32 v41, v4, v37
	v_mov_b32_e32 v4, s3
	v_lshlrev_b64 v[0:1], 3, v[0:1]
	v_sub_f32_e32 v19, v21, v22
	v_addc_co_u32_e32 v3, vcc, v4, v3, vcc
	v_add_f32_e32 v44, v15, v19
	v_add_f32_e32 v15, v24, v22
	v_add_co_u32_e32 v0, vcc, v2, v0
	v_fma_f32 v9, -0.5, v9, v5
	v_fma_f32 v15, -0.5, v15, v5
	v_addc_co_u32_e32 v1, vcc, v3, v1, vcc
	v_sub_f32_e32 v23, v24, v22
	v_mov_b32_e32 v12, v10
	v_mov_b32_e32 v11, v9
	;; [unrolled: 1-line block ×4, first 2 shown]
	v_add_co_u32_e32 v2, vcc, s0, v0
	v_fmac_f32_e32 v12, 0x3f737871, v23
	v_fmac_f32_e32 v11, 0xbf737871, v27
	;; [unrolled: 1-line block ×4, first 2 shown]
	v_addc_co_u32_e32 v3, vcc, 0, v1, vcc
	v_fmac_f32_e32 v12, 0x3f167918, v26
	v_fmac_f32_e32 v11, 0xbf167918, v41
	;; [unrolled: 1-line block ×8, first 2 shown]
	v_add_co_u32_e32 v4, vcc, s1, v0
	v_fmac_f32_e32 v12, 0x3e9e377a, v38
	v_fmac_f32_e32 v11, 0x3e9e377a, v25
	;; [unrolled: 1-line block ×8, first 2 shown]
	v_addc_co_u32_e32 v5, vcc, 0, v1, vcc
	s_mov_b32 s1, 0x18618619
	v_fmac_f32_e32 v10, 0x3e9e377a, v38
	v_fmac_f32_e32 v9, 0x3e9e377a, v25
	;; [unrolled: 1-line block ×4, first 2 shown]
	global_store_dwordx2 v[0:1], v[13:14], off
	global_store_dwordx2 v[0:1], v[9:10], off offset:2688
	global_store_dwordx2 v[2:3], v[19:20], off offset:1280
	;; [unrolled: 1-line block ×6, first 2 shown]
	v_mul_hi_u32 v6, v43, s1
	v_fmac_f32_e32 v32, 0x3e9e377a, v58
	v_fmac_f32_e32 v35, 0x3e9e377a, v57
	;; [unrolled: 1-line block ×3, first 2 shown]
	global_store_dwordx2 v[2:3], v[32:33], off offset:2176
	global_store_dwordx2 v[4:5], v[34:35], off offset:768
	;; [unrolled: 1-line block ×3, first 2 shown]
	v_lshrrev_b32_e32 v2, 1, v6
	v_mul_u32_u24_e32 v7, 0x540, v2
	v_lshlrev_b64 v[2:3], 3, v[7:8]
	s_movk_i32 s1, 0x700
	v_add_co_u32_e32 v0, vcc, v0, v2
	v_addc_co_u32_e32 v1, vcc, v1, v3, vcc
	v_add_co_u32_e32 v2, vcc, s1, v0
	v_addc_co_u32_e32 v3, vcc, 0, v1, vcc
	global_store_dwordx2 v[0:1], v[50:51], off offset:1792
	global_store_dwordx2 v[2:3], v[28:29], off offset:2688
	v_add_co_u32_e32 v2, vcc, s0, v0
	v_addc_co_u32_e32 v3, vcc, 0, v1, vcc
	global_store_dwordx2 v[2:3], v[48:49], off offset:3072
	v_add_co_u32_e32 v2, vcc, 0x2000, v0
	v_addc_co_u32_e32 v3, vcc, 0, v1, vcc
	v_add_co_u32_e32 v0, vcc, 0x3000, v0
	v_addc_co_u32_e32 v1, vcc, 0, v1, vcc
	global_store_dwordx2 v[2:3], v[39:40], off offset:1664
	global_store_dwordx2 v[0:1], v[45:46], off offset:256
.LBB0_51:
	s_endpgm
	.section	.rodata,"a",@progbits
	.p2align	6, 0x0
	.amdhsa_kernel fft_rtc_fwd_len1680_factors_2_2_2_2_3_7_5_wgs_112_tpt_112_halfLds_sp_ip_CI_unitstride_sbrr_dirReg
		.amdhsa_group_segment_fixed_size 0
		.amdhsa_private_segment_fixed_size 0
		.amdhsa_kernarg_size 88
		.amdhsa_user_sgpr_count 6
		.amdhsa_user_sgpr_private_segment_buffer 1
		.amdhsa_user_sgpr_dispatch_ptr 0
		.amdhsa_user_sgpr_queue_ptr 0
		.amdhsa_user_sgpr_kernarg_segment_ptr 1
		.amdhsa_user_sgpr_dispatch_id 0
		.amdhsa_user_sgpr_flat_scratch_init 0
		.amdhsa_user_sgpr_private_segment_size 0
		.amdhsa_uses_dynamic_stack 0
		.amdhsa_system_sgpr_private_segment_wavefront_offset 0
		.amdhsa_system_sgpr_workgroup_id_x 1
		.amdhsa_system_sgpr_workgroup_id_y 0
		.amdhsa_system_sgpr_workgroup_id_z 0
		.amdhsa_system_sgpr_workgroup_info 0
		.amdhsa_system_vgpr_workitem_id 0
		.amdhsa_next_free_vgpr 72
		.amdhsa_next_free_sgpr 22
		.amdhsa_reserve_vcc 1
		.amdhsa_reserve_flat_scratch 0
		.amdhsa_float_round_mode_32 0
		.amdhsa_float_round_mode_16_64 0
		.amdhsa_float_denorm_mode_32 3
		.amdhsa_float_denorm_mode_16_64 3
		.amdhsa_dx10_clamp 1
		.amdhsa_ieee_mode 1
		.amdhsa_fp16_overflow 0
		.amdhsa_exception_fp_ieee_invalid_op 0
		.amdhsa_exception_fp_denorm_src 0
		.amdhsa_exception_fp_ieee_div_zero 0
		.amdhsa_exception_fp_ieee_overflow 0
		.amdhsa_exception_fp_ieee_underflow 0
		.amdhsa_exception_fp_ieee_inexact 0
		.amdhsa_exception_int_div_zero 0
	.end_amdhsa_kernel
	.text
.Lfunc_end0:
	.size	fft_rtc_fwd_len1680_factors_2_2_2_2_3_7_5_wgs_112_tpt_112_halfLds_sp_ip_CI_unitstride_sbrr_dirReg, .Lfunc_end0-fft_rtc_fwd_len1680_factors_2_2_2_2_3_7_5_wgs_112_tpt_112_halfLds_sp_ip_CI_unitstride_sbrr_dirReg
                                        ; -- End function
	.section	.AMDGPU.csdata,"",@progbits
; Kernel info:
; codeLenInByte = 10524
; NumSgprs: 26
; NumVgprs: 72
; ScratchSize: 0
; MemoryBound: 0
; FloatMode: 240
; IeeeMode: 1
; LDSByteSize: 0 bytes/workgroup (compile time only)
; SGPRBlocks: 3
; VGPRBlocks: 17
; NumSGPRsForWavesPerEU: 26
; NumVGPRsForWavesPerEU: 72
; Occupancy: 3
; WaveLimiterHint : 1
; COMPUTE_PGM_RSRC2:SCRATCH_EN: 0
; COMPUTE_PGM_RSRC2:USER_SGPR: 6
; COMPUTE_PGM_RSRC2:TRAP_HANDLER: 0
; COMPUTE_PGM_RSRC2:TGID_X_EN: 1
; COMPUTE_PGM_RSRC2:TGID_Y_EN: 0
; COMPUTE_PGM_RSRC2:TGID_Z_EN: 0
; COMPUTE_PGM_RSRC2:TIDIG_COMP_CNT: 0
	.type	__hip_cuid_52ff022a3eb32caf,@object ; @__hip_cuid_52ff022a3eb32caf
	.section	.bss,"aw",@nobits
	.globl	__hip_cuid_52ff022a3eb32caf
__hip_cuid_52ff022a3eb32caf:
	.byte	0                               ; 0x0
	.size	__hip_cuid_52ff022a3eb32caf, 1

	.ident	"AMD clang version 19.0.0git (https://github.com/RadeonOpenCompute/llvm-project roc-6.4.0 25133 c7fe45cf4b819c5991fe208aaa96edf142730f1d)"
	.section	".note.GNU-stack","",@progbits
	.addrsig
	.addrsig_sym __hip_cuid_52ff022a3eb32caf
	.amdgpu_metadata
---
amdhsa.kernels:
  - .args:
      - .actual_access:  read_only
        .address_space:  global
        .offset:         0
        .size:           8
        .value_kind:     global_buffer
      - .offset:         8
        .size:           8
        .value_kind:     by_value
      - .actual_access:  read_only
        .address_space:  global
        .offset:         16
        .size:           8
        .value_kind:     global_buffer
      - .actual_access:  read_only
        .address_space:  global
        .offset:         24
        .size:           8
        .value_kind:     global_buffer
      - .offset:         32
        .size:           8
        .value_kind:     by_value
      - .actual_access:  read_only
        .address_space:  global
        .offset:         40
        .size:           8
        .value_kind:     global_buffer
      - .actual_access:  read_only
        .address_space:  global
        .offset:         48
        .size:           8
        .value_kind:     global_buffer
      - .offset:         56
        .size:           4
        .value_kind:     by_value
      - .actual_access:  read_only
        .address_space:  global
        .offset:         64
        .size:           8
        .value_kind:     global_buffer
      - .actual_access:  read_only
        .address_space:  global
        .offset:         72
        .size:           8
        .value_kind:     global_buffer
      - .address_space:  global
        .offset:         80
        .size:           8
        .value_kind:     global_buffer
    .group_segment_fixed_size: 0
    .kernarg_segment_align: 8
    .kernarg_segment_size: 88
    .language:       OpenCL C
    .language_version:
      - 2
      - 0
    .max_flat_workgroup_size: 112
    .name:           fft_rtc_fwd_len1680_factors_2_2_2_2_3_7_5_wgs_112_tpt_112_halfLds_sp_ip_CI_unitstride_sbrr_dirReg
    .private_segment_fixed_size: 0
    .sgpr_count:     26
    .sgpr_spill_count: 0
    .symbol:         fft_rtc_fwd_len1680_factors_2_2_2_2_3_7_5_wgs_112_tpt_112_halfLds_sp_ip_CI_unitstride_sbrr_dirReg.kd
    .uniform_work_group_size: 1
    .uses_dynamic_stack: false
    .vgpr_count:     72
    .vgpr_spill_count: 0
    .wavefront_size: 64
amdhsa.target:   amdgcn-amd-amdhsa--gfx906
amdhsa.version:
  - 1
  - 2
...

	.end_amdgpu_metadata
